;; amdgpu-corpus repo=ROCm/rocFFT kind=compiled arch=gfx1201 opt=O3
	.text
	.amdgcn_target "amdgcn-amd-amdhsa--gfx1201"
	.amdhsa_code_object_version 6
	.protected	fft_rtc_fwd_len900_factors_10_10_3_3_wgs_180_tpt_90_halfLds_dp_op_CI_CI_sbrr_dirReg ; -- Begin function fft_rtc_fwd_len900_factors_10_10_3_3_wgs_180_tpt_90_halfLds_dp_op_CI_CI_sbrr_dirReg
	.globl	fft_rtc_fwd_len900_factors_10_10_3_3_wgs_180_tpt_90_halfLds_dp_op_CI_CI_sbrr_dirReg
	.p2align	8
	.type	fft_rtc_fwd_len900_factors_10_10_3_3_wgs_180_tpt_90_halfLds_dp_op_CI_CI_sbrr_dirReg,@function
fft_rtc_fwd_len900_factors_10_10_3_3_wgs_180_tpt_90_halfLds_dp_op_CI_CI_sbrr_dirReg: ; @fft_rtc_fwd_len900_factors_10_10_3_3_wgs_180_tpt_90_halfLds_dp_op_CI_CI_sbrr_dirReg
; %bb.0:
	s_clause 0x2
	s_load_b128 s[12:15], s[0:1], 0x18
	s_load_b128 s[4:7], s[0:1], 0x0
	;; [unrolled: 1-line block ×3, first 2 shown]
	v_mul_u32_u24_e32 v1, 0x2d9, v0
	v_mov_b32_e32 v4, 0
	v_mov_b32_e32 v5, 0
	s_wait_kmcnt 0x0
	s_load_b64 s[18:19], s[12:13], 0x0
	s_load_b64 s[16:17], s[14:15], 0x0
	v_lshrrev_b32_e32 v44, 16, v1
	v_mov_b32_e32 v1, 0
	v_cmp_lt_u64_e64 s2, s[6:7], 2
	s_delay_alu instid0(VALU_DEP_3) | instskip(NEXT) | instid1(VALU_DEP_3)
	v_lshl_add_u32 v6, ttmp9, 1, v44
	v_mov_b32_e32 v7, v1
	s_delay_alu instid0(VALU_DEP_3)
	s_and_b32 vcc_lo, exec_lo, s2
	s_cbranch_vccnz .LBB0_8
; %bb.1:
	s_load_b64 s[2:3], s[0:1], 0x10
	v_mov_b32_e32 v4, 0
	v_mov_b32_e32 v5, 0
	s_add_nc_u64 s[20:21], s[14:15], 8
	s_add_nc_u64 s[22:23], s[12:13], 8
	s_mov_b64 s[24:25], 1
	s_delay_alu instid0(VALU_DEP_1)
	v_dual_mov_b32 v41, v5 :: v_dual_mov_b32 v40, v4
	s_wait_kmcnt 0x0
	s_add_nc_u64 s[26:27], s[2:3], 8
	s_mov_b32 s3, 0
.LBB0_2:                                ; =>This Inner Loop Header: Depth=1
	s_load_b64 s[28:29], s[26:27], 0x0
                                        ; implicit-def: $vgpr42_vgpr43
	s_mov_b32 s2, exec_lo
	s_wait_kmcnt 0x0
	v_or_b32_e32 v2, s29, v7
	s_delay_alu instid0(VALU_DEP_1)
	v_cmpx_ne_u64_e32 0, v[1:2]
	s_wait_alu 0xfffe
	s_xor_b32 s30, exec_lo, s2
	s_cbranch_execz .LBB0_4
; %bb.3:                                ;   in Loop: Header=BB0_2 Depth=1
	s_cvt_f32_u32 s2, s28
	s_cvt_f32_u32 s31, s29
	s_sub_nc_u64 s[36:37], 0, s[28:29]
	s_wait_alu 0xfffe
	s_delay_alu instid0(SALU_CYCLE_1) | instskip(SKIP_1) | instid1(SALU_CYCLE_2)
	s_fmamk_f32 s2, s31, 0x4f800000, s2
	s_wait_alu 0xfffe
	v_s_rcp_f32 s2, s2
	s_delay_alu instid0(TRANS32_DEP_1) | instskip(SKIP_1) | instid1(SALU_CYCLE_2)
	s_mul_f32 s2, s2, 0x5f7ffffc
	s_wait_alu 0xfffe
	s_mul_f32 s31, s2, 0x2f800000
	s_wait_alu 0xfffe
	s_delay_alu instid0(SALU_CYCLE_2) | instskip(SKIP_1) | instid1(SALU_CYCLE_2)
	s_trunc_f32 s31, s31
	s_wait_alu 0xfffe
	s_fmamk_f32 s2, s31, 0xcf800000, s2
	s_cvt_u32_f32 s35, s31
	s_wait_alu 0xfffe
	s_delay_alu instid0(SALU_CYCLE_1) | instskip(SKIP_1) | instid1(SALU_CYCLE_2)
	s_cvt_u32_f32 s34, s2
	s_wait_alu 0xfffe
	s_mul_u64 s[38:39], s[36:37], s[34:35]
	s_wait_alu 0xfffe
	s_mul_hi_u32 s41, s34, s39
	s_mul_i32 s40, s34, s39
	s_mul_hi_u32 s2, s34, s38
	s_mul_i32 s33, s35, s38
	s_wait_alu 0xfffe
	s_add_nc_u64 s[40:41], s[2:3], s[40:41]
	s_mul_hi_u32 s31, s35, s38
	s_mul_hi_u32 s42, s35, s39
	s_add_co_u32 s2, s40, s33
	s_wait_alu 0xfffe
	s_add_co_ci_u32 s2, s41, s31
	s_mul_i32 s38, s35, s39
	s_add_co_ci_u32 s39, s42, 0
	s_wait_alu 0xfffe
	s_add_nc_u64 s[38:39], s[2:3], s[38:39]
	s_wait_alu 0xfffe
	v_add_co_u32 v2, s2, s34, s38
	s_delay_alu instid0(VALU_DEP_1) | instskip(SKIP_1) | instid1(VALU_DEP_1)
	s_cmp_lg_u32 s2, 0
	s_add_co_ci_u32 s35, s35, s39
	v_readfirstlane_b32 s34, v2
	s_wait_alu 0xfffe
	s_delay_alu instid0(VALU_DEP_1)
	s_mul_u64 s[36:37], s[36:37], s[34:35]
	s_wait_alu 0xfffe
	s_mul_hi_u32 s39, s34, s37
	s_mul_i32 s38, s34, s37
	s_mul_hi_u32 s2, s34, s36
	s_mul_i32 s33, s35, s36
	s_wait_alu 0xfffe
	s_add_nc_u64 s[38:39], s[2:3], s[38:39]
	s_mul_hi_u32 s31, s35, s36
	s_mul_hi_u32 s34, s35, s37
	s_wait_alu 0xfffe
	s_add_co_u32 s2, s38, s33
	s_add_co_ci_u32 s2, s39, s31
	s_mul_i32 s36, s35, s37
	s_add_co_ci_u32 s37, s34, 0
	s_wait_alu 0xfffe
	s_add_nc_u64 s[36:37], s[2:3], s[36:37]
	s_wait_alu 0xfffe
	v_add_co_u32 v8, s2, v2, s36
	s_delay_alu instid0(VALU_DEP_1) | instskip(SKIP_1) | instid1(VALU_DEP_1)
	s_cmp_lg_u32 s2, 0
	s_add_co_ci_u32 s2, s35, s37
	v_mul_hi_u32 v12, v6, v8
	s_wait_alu 0xfffe
	v_mad_co_u64_u32 v[2:3], null, v6, s2, 0
	v_mad_co_u64_u32 v[8:9], null, v7, v8, 0
	;; [unrolled: 1-line block ×3, first 2 shown]
	s_delay_alu instid0(VALU_DEP_3) | instskip(SKIP_1) | instid1(VALU_DEP_4)
	v_add_co_u32 v2, vcc_lo, v12, v2
	s_wait_alu 0xfffd
	v_add_co_ci_u32_e32 v3, vcc_lo, 0, v3, vcc_lo
	s_delay_alu instid0(VALU_DEP_2) | instskip(SKIP_1) | instid1(VALU_DEP_2)
	v_add_co_u32 v2, vcc_lo, v2, v8
	s_wait_alu 0xfffd
	v_add_co_ci_u32_e32 v2, vcc_lo, v3, v9, vcc_lo
	s_wait_alu 0xfffd
	v_add_co_ci_u32_e32 v3, vcc_lo, 0, v11, vcc_lo
	s_delay_alu instid0(VALU_DEP_2) | instskip(SKIP_1) | instid1(VALU_DEP_2)
	v_add_co_u32 v8, vcc_lo, v2, v10
	s_wait_alu 0xfffd
	v_add_co_ci_u32_e32 v9, vcc_lo, 0, v3, vcc_lo
	s_delay_alu instid0(VALU_DEP_2) | instskip(SKIP_1) | instid1(VALU_DEP_3)
	v_mul_lo_u32 v10, s29, v8
	v_mad_co_u64_u32 v[2:3], null, s28, v8, 0
	v_mul_lo_u32 v11, s28, v9
	s_delay_alu instid0(VALU_DEP_2) | instskip(NEXT) | instid1(VALU_DEP_2)
	v_sub_co_u32 v2, vcc_lo, v6, v2
	v_add3_u32 v3, v3, v11, v10
	s_delay_alu instid0(VALU_DEP_1) | instskip(SKIP_1) | instid1(VALU_DEP_1)
	v_sub_nc_u32_e32 v10, v7, v3
	s_wait_alu 0xfffd
	v_subrev_co_ci_u32_e64 v10, s2, s29, v10, vcc_lo
	v_add_co_u32 v11, s2, v8, 2
	s_wait_alu 0xf1ff
	v_add_co_ci_u32_e64 v12, s2, 0, v9, s2
	v_sub_co_u32 v13, s2, v2, s28
	v_sub_co_ci_u32_e32 v3, vcc_lo, v7, v3, vcc_lo
	s_wait_alu 0xf1ff
	v_subrev_co_ci_u32_e64 v10, s2, 0, v10, s2
	s_delay_alu instid0(VALU_DEP_3) | instskip(NEXT) | instid1(VALU_DEP_3)
	v_cmp_le_u32_e32 vcc_lo, s28, v13
	v_cmp_eq_u32_e64 s2, s29, v3
	s_wait_alu 0xfffd
	v_cndmask_b32_e64 v13, 0, -1, vcc_lo
	v_cmp_le_u32_e32 vcc_lo, s29, v10
	s_wait_alu 0xfffd
	v_cndmask_b32_e64 v14, 0, -1, vcc_lo
	v_cmp_le_u32_e32 vcc_lo, s28, v2
	;; [unrolled: 3-line block ×3, first 2 shown]
	s_wait_alu 0xfffd
	v_cndmask_b32_e64 v15, 0, -1, vcc_lo
	v_cmp_eq_u32_e32 vcc_lo, s29, v10
	s_wait_alu 0xf1ff
	s_delay_alu instid0(VALU_DEP_2)
	v_cndmask_b32_e64 v2, v15, v2, s2
	s_wait_alu 0xfffd
	v_cndmask_b32_e32 v10, v14, v13, vcc_lo
	v_add_co_u32 v13, vcc_lo, v8, 1
	s_wait_alu 0xfffd
	v_add_co_ci_u32_e32 v14, vcc_lo, 0, v9, vcc_lo
	s_delay_alu instid0(VALU_DEP_3) | instskip(SKIP_1) | instid1(VALU_DEP_2)
	v_cmp_ne_u32_e32 vcc_lo, 0, v10
	s_wait_alu 0xfffd
	v_dual_cndmask_b32 v3, v14, v12 :: v_dual_cndmask_b32 v10, v13, v11
	v_cmp_ne_u32_e32 vcc_lo, 0, v2
	s_wait_alu 0xfffd
	s_delay_alu instid0(VALU_DEP_2)
	v_dual_cndmask_b32 v43, v9, v3 :: v_dual_cndmask_b32 v42, v8, v10
.LBB0_4:                                ;   in Loop: Header=BB0_2 Depth=1
	s_wait_alu 0xfffe
	s_and_not1_saveexec_b32 s2, s30
	s_cbranch_execz .LBB0_6
; %bb.5:                                ;   in Loop: Header=BB0_2 Depth=1
	v_cvt_f32_u32_e32 v2, s28
	s_sub_co_i32 s30, 0, s28
	v_mov_b32_e32 v43, v1
	s_delay_alu instid0(VALU_DEP_2) | instskip(NEXT) | instid1(TRANS32_DEP_1)
	v_rcp_iflag_f32_e32 v2, v2
	v_mul_f32_e32 v2, 0x4f7ffffe, v2
	s_delay_alu instid0(VALU_DEP_1) | instskip(SKIP_1) | instid1(VALU_DEP_1)
	v_cvt_u32_f32_e32 v2, v2
	s_wait_alu 0xfffe
	v_mul_lo_u32 v3, s30, v2
	s_delay_alu instid0(VALU_DEP_1) | instskip(NEXT) | instid1(VALU_DEP_1)
	v_mul_hi_u32 v3, v2, v3
	v_add_nc_u32_e32 v2, v2, v3
	s_delay_alu instid0(VALU_DEP_1) | instskip(NEXT) | instid1(VALU_DEP_1)
	v_mul_hi_u32 v2, v6, v2
	v_mul_lo_u32 v3, v2, s28
	v_add_nc_u32_e32 v8, 1, v2
	s_delay_alu instid0(VALU_DEP_2) | instskip(NEXT) | instid1(VALU_DEP_1)
	v_sub_nc_u32_e32 v3, v6, v3
	v_subrev_nc_u32_e32 v9, s28, v3
	v_cmp_le_u32_e32 vcc_lo, s28, v3
	s_wait_alu 0xfffd
	s_delay_alu instid0(VALU_DEP_2) | instskip(NEXT) | instid1(VALU_DEP_1)
	v_dual_cndmask_b32 v3, v3, v9 :: v_dual_cndmask_b32 v2, v2, v8
	v_cmp_le_u32_e32 vcc_lo, s28, v3
	s_delay_alu instid0(VALU_DEP_2) | instskip(SKIP_1) | instid1(VALU_DEP_1)
	v_add_nc_u32_e32 v8, 1, v2
	s_wait_alu 0xfffd
	v_cndmask_b32_e32 v42, v2, v8, vcc_lo
.LBB0_6:                                ;   in Loop: Header=BB0_2 Depth=1
	s_wait_alu 0xfffe
	s_or_b32 exec_lo, exec_lo, s2
	v_mul_lo_u32 v8, v43, s28
	s_delay_alu instid0(VALU_DEP_2)
	v_mul_lo_u32 v9, v42, s29
	s_load_b64 s[30:31], s[22:23], 0x0
	v_mad_co_u64_u32 v[2:3], null, v42, s28, 0
	s_load_b64 s[28:29], s[20:21], 0x0
	s_add_nc_u64 s[24:25], s[24:25], 1
	s_add_nc_u64 s[20:21], s[20:21], 8
	s_wait_alu 0xfffe
	v_cmp_ge_u64_e64 s2, s[24:25], s[6:7]
	s_add_nc_u64 s[22:23], s[22:23], 8
	s_add_nc_u64 s[26:27], s[26:27], 8
	v_add3_u32 v3, v3, v9, v8
	v_sub_co_u32 v2, vcc_lo, v6, v2
	s_wait_alu 0xfffd
	s_delay_alu instid0(VALU_DEP_2) | instskip(SKIP_2) | instid1(VALU_DEP_1)
	v_sub_co_ci_u32_e32 v3, vcc_lo, v7, v3, vcc_lo
	s_and_b32 vcc_lo, exec_lo, s2
	s_wait_kmcnt 0x0
	v_mul_lo_u32 v6, s30, v3
	v_mul_lo_u32 v7, s31, v2
	v_mad_co_u64_u32 v[4:5], null, s30, v2, v[4:5]
	v_mul_lo_u32 v3, s28, v3
	v_mul_lo_u32 v8, s29, v2
	v_mad_co_u64_u32 v[40:41], null, s28, v2, v[40:41]
	s_delay_alu instid0(VALU_DEP_4) | instskip(NEXT) | instid1(VALU_DEP_2)
	v_add3_u32 v5, v7, v5, v6
	v_add3_u32 v41, v8, v41, v3
	s_wait_alu 0xfffe
	s_cbranch_vccnz .LBB0_9
; %bb.7:                                ;   in Loop: Header=BB0_2 Depth=1
	v_dual_mov_b32 v6, v42 :: v_dual_mov_b32 v7, v43
	s_branch .LBB0_2
.LBB0_8:
	v_dual_mov_b32 v41, v5 :: v_dual_mov_b32 v40, v4
	s_delay_alu instid0(VALU_DEP_2)
	v_dual_mov_b32 v43, v7 :: v_dual_mov_b32 v42, v6
.LBB0_9:
	s_load_b64 s[0:1], s[0:1], 0x28
	v_mul_hi_u32 v1, 0x2d82d83, v0
	s_lshl_b64 s[6:7], s[6:7], 3
                                        ; implicit-def: $vgpr72
                                        ; implicit-def: $vgpr74
                                        ; implicit-def: $vgpr75
                                        ; implicit-def: $vgpr73
	s_wait_kmcnt 0x0
	v_cmp_gt_u64_e32 vcc_lo, s[0:1], v[42:43]
	v_cmp_le_u64_e64 s0, s[0:1], v[42:43]
	s_delay_alu instid0(VALU_DEP_1)
	s_and_saveexec_b32 s1, s0
	s_wait_alu 0xfffe
	s_xor_b32 s0, exec_lo, s1
; %bb.10:
	v_mul_u32_u24_e32 v1, 0x5a, v1
                                        ; implicit-def: $vgpr4_vgpr5
	s_delay_alu instid0(VALU_DEP_1) | instskip(NEXT) | instid1(VALU_DEP_1)
	v_sub_nc_u32_e32 v72, v0, v1
                                        ; implicit-def: $vgpr1
                                        ; implicit-def: $vgpr0
	v_add_nc_u32_e32 v74, 0x5a, v72
	v_add_nc_u32_e32 v75, 0xb4, v72
	v_add_nc_u32_e32 v73, 0x10e, v72
; %bb.11:
	s_wait_alu 0xfffe
	s_or_saveexec_b32 s1, s0
	s_add_nc_u64 s[2:3], s[14:15], s[6:7]
                                        ; implicit-def: $vgpr6_vgpr7
                                        ; implicit-def: $vgpr2_vgpr3
                                        ; implicit-def: $vgpr22_vgpr23
                                        ; implicit-def: $vgpr26_vgpr27
                                        ; implicit-def: $vgpr34_vgpr35
                                        ; implicit-def: $vgpr38_vgpr39
                                        ; implicit-def: $vgpr30_vgpr31
                                        ; implicit-def: $vgpr18_vgpr19
                                        ; implicit-def: $vgpr14_vgpr15
                                        ; implicit-def: $vgpr10_vgpr11
	s_wait_alu 0xfffe
	s_xor_b32 exec_lo, exec_lo, s1
	s_cbranch_execz .LBB0_13
; %bb.12:
	s_add_nc_u64 s[6:7], s[12:13], s[6:7]
	v_mul_u32_u24_e32 v1, 0x5a, v1
	s_load_b64 s[6:7], s[6:7], 0x0
	v_lshlrev_b64_e32 v[4:5], 4, v[4:5]
	s_delay_alu instid0(VALU_DEP_2) | instskip(NEXT) | instid1(VALU_DEP_1)
	v_sub_nc_u32_e32 v72, v0, v1
	v_add_nc_u32_e32 v74, 0x5a, v72
	v_add_nc_u32_e32 v75, 0xb4, v72
	;; [unrolled: 1-line block ×3, first 2 shown]
	v_mad_co_u64_u32 v[0:1], null, s18, v72, 0
	s_delay_alu instid0(VALU_DEP_4) | instskip(NEXT) | instid1(VALU_DEP_4)
	v_mad_co_u64_u32 v[2:3], null, s18, v74, 0
	v_mad_co_u64_u32 v[6:7], null, s18, v75, 0
	s_delay_alu instid0(VALU_DEP_4)
	v_mad_co_u64_u32 v[16:17], null, s18, v73, 0
	s_wait_kmcnt 0x0
	v_mul_lo_u32 v12, s7, v42
	v_mul_lo_u32 v13, s6, v43
	v_mad_co_u64_u32 v[8:9], null, s6, v42, 0
	v_mad_co_u64_u32 v[10:11], null, s19, v72, v[1:2]
	v_mov_b32_e32 v1, v3
	v_mov_b32_e32 v3, v7
	v_dual_mov_b32 v7, v17 :: v_dual_add_nc_u32 v26, 0x21c, v72
	v_add3_u32 v9, v9, v13, v12
	s_delay_alu instid0(VALU_DEP_4) | instskip(SKIP_2) | instid1(VALU_DEP_4)
	v_mad_co_u64_u32 v[11:12], null, s19, v74, v[1:2]
	v_add_nc_u32_e32 v27, 0x276, v72
	v_dual_mov_b32 v1, v10 :: v_dual_add_nc_u32 v34, 0x2d0, v72
	v_lshlrev_b64_e32 v[8:9], 4, v[8:9]
	v_mad_co_u64_u32 v[22:23], null, s18, v26, 0
	s_delay_alu instid0(VALU_DEP_4) | instskip(NEXT) | instid1(VALU_DEP_4)
	v_mad_co_u64_u32 v[24:25], null, s18, v27, 0
	v_lshlrev_b64_e32 v[0:1], 4, v[0:1]
	s_delay_alu instid0(VALU_DEP_4)
	v_mad_co_u64_u32 v[17:18], null, s19, v73, v[7:8]
	v_add_nc_u32_e32 v18, 0x1c2, v72
	v_mad_co_u64_u32 v[12:13], null, s19, v75, v[3:4]
	v_add_co_u32 v8, s0, s8, v8
	v_mov_b32_e32 v3, v11
	s_wait_alu 0xf1ff
	v_add_co_ci_u32_e64 v9, s0, s9, v9, s0
	s_delay_alu instid0(VALU_DEP_3)
	v_add_co_u32 v32, s0, v8, v4
	v_add_nc_u32_e32 v19, 0x168, v72
	v_mov_b32_e32 v7, v12
	s_wait_alu 0xf1ff
	v_add_co_ci_u32_e64 v33, s0, v9, v5, s0
	v_lshlrev_b64_e32 v[2:3], 4, v[2:3]
	v_add_co_u32 v0, s0, v32, v0
	s_wait_alu 0xf1ff
	s_delay_alu instid0(VALU_DEP_3)
	v_add_co_ci_u32_e64 v1, s0, v33, v1, s0
	v_lshlrev_b64_e32 v[4:5], 4, v[6:7]
	v_mad_co_u64_u32 v[6:7], null, s18, v19, 0
	v_add_co_u32 v2, s0, v32, v2
	s_wait_alu 0xf1ff
	v_add_co_ci_u32_e64 v3, s0, v33, v3, s0
	s_clause 0x1
	global_load_b128 v[8:11], v[0:1], off
	global_load_b128 v[12:15], v[2:3], off
	v_add_co_u32 v0, s0, v32, v4
	v_lshlrev_b64_e32 v[3:4], 4, v[16:17]
	v_mov_b32_e32 v2, v7
	v_mad_co_u64_u32 v[20:21], null, s18, v18, 0
	s_wait_alu 0xf1ff
	v_add_co_ci_u32_e64 v1, s0, v33, v5, s0
	s_delay_alu instid0(VALU_DEP_3) | instskip(SKIP_4) | instid1(VALU_DEP_4)
	v_mad_co_u64_u32 v[16:17], null, s19, v19, v[2:3]
	v_add_co_u32 v2, s0, v32, v3
	s_wait_alu 0xf1ff
	v_add_co_ci_u32_e64 v3, s0, v33, v4, s0
	v_dual_mov_b32 v4, v21 :: v_dual_add_nc_u32 v35, 0x32a, v72
	v_mov_b32_e32 v7, v16
	s_delay_alu instid0(VALU_DEP_2)
	v_mad_co_u64_u32 v[4:5], null, s19, v18, v[4:5]
	s_clause 0x1
	global_load_b128 v[16:19], v[0:1], off
	global_load_b128 v[28:31], v[2:3], off
	v_lshlrev_b64_e32 v[1:2], 4, v[6:7]
	v_dual_mov_b32 v0, v23 :: v_dual_mov_b32 v21, v4
	s_delay_alu instid0(VALU_DEP_1) | instskip(SKIP_2) | instid1(VALU_DEP_4)
	v_mad_co_u64_u32 v[3:4], null, s19, v26, v[0:1]
	v_mad_co_u64_u32 v[4:5], null, s18, v34, 0
	v_mov_b32_e32 v0, v25
	v_lshlrev_b64_e32 v[20:21], 4, v[20:21]
	s_delay_alu instid0(VALU_DEP_4) | instskip(NEXT) | instid1(VALU_DEP_3)
	v_mov_b32_e32 v23, v3
	v_mad_co_u64_u32 v[6:7], null, s19, v27, v[0:1]
	v_mad_co_u64_u32 v[26:27], null, s18, v35, 0
	v_add_co_u32 v0, s0, v32, v1
	s_wait_alu 0xf1ff
	v_add_co_ci_u32_e64 v1, s0, v33, v2, s0
	s_delay_alu instid0(VALU_DEP_4) | instskip(SKIP_3) | instid1(VALU_DEP_3)
	v_dual_mov_b32 v2, v5 :: v_dual_mov_b32 v25, v6
	v_add_co_u32 v6, s0, v32, v20
	s_wait_alu 0xf1ff
	v_add_co_ci_u32_e64 v7, s0, v33, v21, s0
	v_mad_co_u64_u32 v[2:3], null, s19, v34, v[2:3]
	v_mov_b32_e32 v3, v27
	v_lshlrev_b64_e32 v[20:21], 4, v[22:23]
	s_delay_alu instid0(VALU_DEP_2) | instskip(NEXT) | instid1(VALU_DEP_4)
	v_mad_co_u64_u32 v[22:23], null, s19, v35, v[3:4]
	v_mov_b32_e32 v5, v2
	v_lshlrev_b64_e32 v[23:24], 4, v[24:25]
	s_delay_alu instid0(VALU_DEP_4)
	v_add_co_u32 v2, s0, v32, v20
	s_wait_alu 0xf1ff
	v_add_co_ci_u32_e64 v3, s0, v33, v21, s0
	v_mov_b32_e32 v27, v22
	v_lshlrev_b64_e32 v[4:5], 4, v[4:5]
	v_add_co_u32 v20, s0, v32, v23
	s_wait_alu 0xf1ff
	v_add_co_ci_u32_e64 v21, s0, v33, v24, s0
	v_lshlrev_b64_e32 v[22:23], 4, v[26:27]
	s_delay_alu instid0(VALU_DEP_4) | instskip(SKIP_2) | instid1(VALU_DEP_3)
	v_add_co_u32 v4, s0, v32, v4
	s_wait_alu 0xf1ff
	v_add_co_ci_u32_e64 v5, s0, v33, v5, s0
	v_add_co_u32 v45, s0, v32, v22
	s_wait_alu 0xf1ff
	v_add_co_ci_u32_e64 v46, s0, v33, v23, s0
	s_clause 0x5
	global_load_b128 v[36:39], v[0:1], off
	global_load_b128 v[32:35], v[6:7], off
	global_load_b128 v[24:27], v[2:3], off
	global_load_b128 v[20:23], v[20:21], off
	global_load_b128 v[0:3], v[4:5], off
	global_load_b128 v[4:7], v[45:46], off
.LBB0_13:
	s_or_b32 exec_lo, exec_lo, s1
	s_wait_loadcnt 0x2
	v_add_f64_e32 v[45:46], v[20:21], v[32:33]
	s_wait_loadcnt 0x0
	v_add_f64_e32 v[47:48], v[4:5], v[28:29]
	v_add_f64_e32 v[49:50], v[6:7], v[30:31]
	;; [unrolled: 1-line block ×3, first 2 shown]
	v_add_f64_e64 v[53:54], v[30:31], -v[6:7]
	v_add_f64_e64 v[55:56], v[34:35], -v[22:23]
	;; [unrolled: 1-line block ×4, first 2 shown]
	s_mov_b32 s8, 0x134454ff
	s_mov_b32 s9, 0x3fee6f0e
	;; [unrolled: 1-line block ×3, first 2 shown]
	s_wait_alu 0xfffe
	s_mov_b32 s6, s8
	v_add_f64_e32 v[61:62], v[24:25], v[36:37]
	v_add_f64_e32 v[63:64], v[0:1], v[16:17]
	v_add_f64_e64 v[65:66], v[32:33], -v[28:29]
	v_add_f64_e64 v[67:68], v[20:21], -v[4:5]
	;; [unrolled: 1-line block ×4, first 2 shown]
	v_add_f64_e32 v[82:83], v[26:27], v[38:39]
	v_add_f64_e32 v[84:85], v[2:3], v[18:19]
	v_add_f64_e64 v[90:91], v[34:35], -v[30:31]
	v_add_f64_e64 v[92:93], v[22:23], -v[6:7]
	;; [unrolled: 1-line block ×4, first 2 shown]
	s_mov_b32 s14, 0x4755a5e
	s_mov_b32 s15, 0x3fe2cf23
	;; [unrolled: 1-line block ×4, first 2 shown]
	v_add_f64_e32 v[98:99], v[16:17], v[8:9]
	v_add_f64_e64 v[100:101], v[18:19], -v[2:3]
	s_mov_b32 s18, 0x372fe950
	s_mov_b32 s19, 0x3fd3c6ef
	;; [unrolled: 1-line block ×4, first 2 shown]
	s_load_b64 s[2:3], s[2:3], 0x0
	v_fma_f64 v[45:46], v[45:46], -0.5, v[12:13]
	v_fma_f64 v[47:48], v[47:48], -0.5, v[12:13]
	;; [unrolled: 1-line block ×4, first 2 shown]
	v_add_f64_e32 v[12:13], v[28:29], v[12:13]
	v_add_f64_e64 v[28:29], v[38:39], -v[26:27]
	v_add_f64_e32 v[14:15], v[30:31], v[14:15]
	v_add_f64_e32 v[30:31], v[18:19], v[10:11]
	v_fma_f64 v[61:62], v[61:62], -0.5, v[8:9]
	v_fma_f64 v[8:9], v[63:64], -0.5, v[8:9]
	v_add_f64_e32 v[63:64], v[67:68], v[65:66]
	v_add_f64_e32 v[65:66], v[76:77], v[69:70]
	v_add_f64_e64 v[76:77], v[36:37], -v[24:25]
	v_fma_f64 v[78:79], v[53:54], s[8:9], v[45:46]
	v_fma_f64 v[80:81], v[55:56], s[6:7], v[47:48]
	;; [unrolled: 1-line block ×8, first 2 shown]
	v_add_f64_e32 v[12:13], v[32:33], v[12:13]
	v_add_f64_e32 v[30:31], v[38:39], v[30:31]
	;; [unrolled: 1-line block ×3, first 2 shown]
	v_fma_f64 v[32:33], v[100:101], s[8:9], v[61:62]
	v_fma_f64 v[61:62], v[100:101], s[6:7], v[61:62]
	;; [unrolled: 1-line block ×6, first 2 shown]
	v_add_f64_e64 v[53:54], v[16:17], -v[0:1]
	v_fma_f64 v[55:56], v[82:83], -0.5, v[10:11]
	v_fma_f64 v[10:11], v[84:85], -0.5, v[10:11]
	v_add_f64_e32 v[80:81], v[92:93], v[90:91]
	v_fma_f64 v[82:83], v[57:58], s[14:15], v[94:95]
	v_add_f64_e32 v[78:79], v[88:89], v[86:87]
	v_fma_f64 v[84:85], v[59:60], s[14:15], v[96:97]
	v_add_f64_e64 v[86:87], v[16:17], -v[36:37]
	v_add_f64_e64 v[16:17], v[36:37], -v[16:17]
	;; [unrolled: 1-line block ×4, first 2 shown]
	v_add_f64_e32 v[36:37], v[36:37], v[98:99]
	v_fma_f64 v[92:93], v[28:29], s[6:7], v[8:9]
	v_fma_f64 v[8:9], v[28:29], s[8:9], v[8:9]
	;; [unrolled: 1-line block ×4, first 2 shown]
	v_add_f64_e32 v[12:13], v[20:21], v[12:13]
	v_fma_f64 v[20:21], v[28:29], s[14:15], v[32:33]
	v_fma_f64 v[28:29], v[28:29], s[12:13], v[61:62]
	v_add_f64_e32 v[14:15], v[22:23], v[14:15]
	v_fma_f64 v[57:58], v[65:66], s[18:19], v[67:68]
	v_fma_f64 v[59:60], v[63:64], s[18:19], v[69:70]
	;; [unrolled: 1-line block ×4, first 2 shown]
	v_add_f64_e64 v[63:64], v[18:19], -v[38:39]
	v_add_f64_e64 v[18:19], v[38:39], -v[18:19]
	v_add_f64_e64 v[65:66], v[2:3], -v[26:27]
	v_fma_f64 v[34:35], v[53:54], s[6:7], v[55:56]
	v_fma_f64 v[38:39], v[53:54], s[8:9], v[55:56]
	v_add_f64_e64 v[67:68], v[26:27], -v[2:3]
	v_fma_f64 v[55:56], v[76:77], s[8:9], v[10:11]
	v_fma_f64 v[10:11], v[76:77], s[6:7], v[10:11]
	;; [unrolled: 1-line block ×4, first 2 shown]
	v_add_f64_e32 v[84:85], v[88:89], v[86:87]
	v_add_f64_e32 v[16:17], v[90:91], v[16:17]
	;; [unrolled: 1-line block ×3, first 2 shown]
	v_fma_f64 v[32:33], v[100:101], s[14:15], v[92:93]
	v_fma_f64 v[8:9], v[100:101], s[12:13], v[8:9]
	;; [unrolled: 1-line block ×4, first 2 shown]
	v_add_f64_e32 v[26:27], v[26:27], v[30:31]
	v_add_f64_e32 v[12:13], v[4:5], v[12:13]
	v_and_b32_e32 v4, 0xff, v72
	v_mul_f64_e32 v[51:52], s[20:21], v[57:58]
	v_mul_f64_e32 v[61:62], s[18:19], v[59:60]
	;; [unrolled: 1-line block ×4, first 2 shown]
	v_add_f64_e32 v[63:64], v[65:66], v[63:64]
	v_fma_f64 v[22:23], v[76:77], s[12:13], v[34:35]
	v_fma_f64 v[30:31], v[76:77], s[14:15], v[38:39]
	v_mul_f64_e32 v[38:39], s[12:13], v[57:58]
	v_add_f64_e32 v[18:19], v[67:68], v[18:19]
	v_fma_f64 v[34:35], v[53:54], s[12:13], v[55:56]
	v_fma_f64 v[10:11], v[53:54], s[14:15], v[10:11]
	v_mul_f64_e32 v[53:54], s[6:7], v[59:60]
	v_mul_f64_e32 v[55:56], s[18:19], v[69:70]
	;; [unrolled: 1-line block ×3, first 2 shown]
	v_add_f64_e32 v[0:1], v[0:1], v[24:25]
	v_fma_f64 v[20:21], v[84:85], s[18:19], v[20:21]
	v_fma_f64 v[24:25], v[84:85], s[18:19], v[28:29]
	;; [unrolled: 1-line block ×4, first 2 shown]
	v_add_f64_e32 v[26:27], v[2:3], v[26:27]
	v_add_f64_e32 v[65:66], v[6:7], v[14:15]
	v_and_b32_e32 v2, 1, v44
	v_mul_lo_u16 v3, 0xcd, v4
	s_delay_alu instid0(VALU_DEP_2) | instskip(NEXT) | instid1(VALU_DEP_2)
	v_cmp_eq_u32_e64 s0, 1, v2
	v_lshrrev_b16 v2, 11, v3
	s_wait_alu 0xf1ff
	s_delay_alu instid0(VALU_DEP_2) | instskip(SKIP_1) | instid1(VALU_DEP_2)
	v_cndmask_b32_e64 v4, 0, 0x384, s0
	v_cmp_gt_u32_e64 s0, 30, v72
	v_lshlrev_b32_e32 v77, 3, v4
	v_fma_f64 v[16:17], v[36:37], s[14:15], v[51:52]
	v_fma_f64 v[51:52], v[49:50], s[8:9], v[61:62]
	v_fma_f64 v[61:62], v[82:83], s[14:15], -v[80:81]
	v_fma_f64 v[59:60], v[69:70], s[8:9], -v[78:79]
	v_fma_f64 v[67:68], v[63:64], s[18:19], v[22:23]
	v_fma_f64 v[63:64], v[63:64], s[18:19], v[30:31]
	;; [unrolled: 1-line block ×6, first 2 shown]
	v_fma_f64 v[47:48], v[47:48], s[6:7], -v[55:56]
	v_fma_f64 v[49:50], v[45:46], s[12:13], -v[57:58]
	v_add_f64_e32 v[4:5], v[12:13], v[0:1]
	v_add_f64_e64 v[10:11], v[0:1], -v[12:13]
	v_mul_lo_u16 v1, v2, 10
	v_mul_u32_u24_e32 v0, 10, v72
	v_and_b32_e32 v2, 0xffff, v2
	v_add_f64_e64 v[30:31], v[26:27], -v[65:66]
	s_delay_alu instid0(VALU_DEP_4) | instskip(NEXT) | instid1(VALU_DEP_3)
	v_sub_nc_u16 v1, v72, v1
	v_mad_u32_u24 v2, 0x320, v2, 0
	s_delay_alu instid0(VALU_DEP_2)
	v_and_b32_e32 v3, 0xff, v1
	v_add_f64_e32 v[6:7], v[20:21], v[16:17]
	v_add_f64_e32 v[12:13], v[28:29], v[51:52]
	;; [unrolled: 1-line block ×3, first 2 shown]
	v_add_f64_e64 v[22:23], v[24:25], -v[61:62]
	v_add_f64_e32 v[24:25], v[65:66], v[26:27]
	v_add_f64_e32 v[14:15], v[32:33], v[59:60]
	v_add_f64_e64 v[16:17], v[20:21], -v[16:17]
	v_add_f64_e64 v[20:21], v[32:33], -v[59:60]
	v_add_f64_e32 v[26:27], v[67:68], v[36:37]
	v_add_f64_e64 v[18:19], v[28:29], -v[51:52]
	v_add_f64_e64 v[36:37], v[67:68], -v[36:37]
	v_add_nc_u32_e32 v51, 0, v77
	v_add_f64_e32 v[32:33], v[69:70], v[38:39]
	v_add_f64_e32 v[34:35], v[78:79], v[47:48]
	;; [unrolled: 1-line block ×3, first 2 shown]
	v_add_f64_e64 v[38:39], v[69:70], -v[38:39]
	v_add_f64_e64 v[44:45], v[78:79], -v[47:48]
	v_add_f64_e64 v[46:47], v[63:64], -v[49:50]
	v_lshl_add_u32 v56, v0, 3, v51
	v_mul_u32_u24_e32 v0, 9, v3
	v_lshl_add_u32 v79, v72, 3, v51
	v_lshl_add_u32 v80, v74, 3, v51
	;; [unrolled: 1-line block ×3, first 2 shown]
	v_mad_i32_i24 v76, 0xffffffb8, v72, v56
	v_lshlrev_b32_e32 v60, 4, v0
	v_lshl_add_u32 v78, v73, 3, v51
	v_lshlrev_b32_e32 v3, 3, v3
	ds_store_b128 v56, v[4:7]
	ds_store_b128 v56, v[12:15] offset:16
	ds_store_b128 v56, v[8:11] offset:32
	ds_store_b128 v56, v[16:19] offset:48
	ds_store_b128 v56, v[20:23] offset:64
	v_add_nc_u32_e32 v83, 0x800, v76
	v_add_nc_u32_e32 v84, 0x1000, v76
	;; [unrolled: 1-line block ×3, first 2 shown]
	global_wb scope:SCOPE_SE
	s_wait_dscnt 0x0
	s_wait_kmcnt 0x0
	s_barrier_signal -1
	s_barrier_wait -1
	global_inv scope:SCOPE_SE
	ds_load_b64 v[0:1], v79
	ds_load_b64 v[52:53], v80
	;; [unrolled: 1-line block ×4, first 2 shown]
	ds_load_2addr_b64 v[4:7], v83 offset0:104 offset1:194
	ds_load_2addr_b64 v[8:11], v84 offset0:28 offset1:118
	;; [unrolled: 1-line block ×3, first 2 shown]
	global_wb scope:SCOPE_SE
	s_wait_dscnt 0x0
	s_barrier_signal -1
	s_barrier_wait -1
	global_inv scope:SCOPE_SE
	ds_store_b128 v56, v[24:27]
	ds_store_b128 v56, v[32:35] offset:16
	ds_store_b128 v56, v[28:31] offset:32
	;; [unrolled: 1-line block ×4, first 2 shown]
	global_wb scope:SCOPE_SE
	s_wait_dscnt 0x0
	s_barrier_signal -1
	s_barrier_wait -1
	global_inv scope:SCOPE_SE
	s_clause 0x8
	global_load_b128 v[12:15], v60, s[4:5] offset:32
	global_load_b128 v[18:21], v60, s[4:5] offset:64
	;; [unrolled: 1-line block ×4, first 2 shown]
	global_load_b128 v[32:35], v60, s[4:5]
	global_load_b128 v[36:39], v60, s[4:5] offset:48
	global_load_b128 v[44:47], v60, s[4:5] offset:80
	;; [unrolled: 1-line block ×4, first 2 shown]
	ds_load_b64 v[88:89], v78
	ds_load_2addr_b64 v[64:67], v83 offset0:104 offset1:194
	ds_load_2addr_b64 v[68:71], v82 offset0:80 offset1:170
	;; [unrolled: 1-line block ×3, first 2 shown]
	ds_load_b64 v[90:91], v81
	ds_load_b64 v[100:101], v80
	;; [unrolled: 1-line block ×3, first 2 shown]
	global_wb scope:SCOPE_SE
	s_wait_loadcnt_dscnt 0x0
	s_barrier_signal -1
	s_barrier_wait -1
	global_inv scope:SCOPE_SE
	v_mul_f64_e32 v[92:93], v[88:89], v[14:15]
	v_mul_f64_e32 v[14:15], v[22:23], v[14:15]
	v_mul_f64_e32 v[94:95], v[66:67], v[20:21]
	v_mul_f64_e32 v[20:21], v[6:7], v[20:21]
	v_mul_f64_e32 v[96:97], v[10:11], v[26:27]
	v_mul_f64_e32 v[98:99], v[50:51], v[30:31]
	v_mul_f64_e32 v[30:31], v[70:71], v[30:31]
	v_mul_f64_e32 v[26:27], v[86:87], v[26:27]
	v_mul_f64_e32 v[102:103], v[100:101], v[34:35]
	v_mul_f64_e32 v[34:35], v[52:53], v[34:35]
	v_fma_f64 v[92:93], v[22:23], v[12:13], -v[92:93]
	v_fma_f64 v[22:23], v[88:89], v[12:13], v[14:15]
	v_fma_f64 v[6:7], v[6:7], v[18:19], -v[94:95]
	v_fma_f64 v[18:19], v[66:67], v[18:19], v[20:21]
	v_fma_f64 v[14:15], v[86:87], v[24:25], v[96:97]
	;; [unrolled: 1-line block ×3, first 2 shown]
	v_fma_f64 v[28:29], v[50:51], v[28:29], -v[30:31]
	v_fma_f64 v[10:11], v[10:11], v[24:25], -v[26:27]
	v_mul_f64_e32 v[20:21], v[64:65], v[38:39]
	v_mul_f64_e32 v[24:25], v[84:85], v[46:47]
	v_fma_f64 v[66:67], v[52:53], v[32:33], -v[102:103]
	v_fma_f64 v[32:33], v[100:101], v[32:33], v[34:35]
	v_mul_f64_e32 v[26:27], v[90:91], v[58:59]
	v_mul_f64_e32 v[30:31], v[68:69], v[62:63]
	;; [unrolled: 1-line block ×6, first 2 shown]
	v_add_f64_e32 v[50:51], v[18:19], v[14:15]
	v_add_f64_e32 v[70:71], v[22:23], v[12:13]
	;; [unrolled: 1-line block ×4, first 2 shown]
	v_fma_f64 v[34:35], v[4:5], v[36:37], -v[20:21]
	v_fma_f64 v[46:47], v[8:9], v[44:45], -v[24:25]
	v_add_f64_e64 v[24:25], v[92:93], -v[28:29]
	v_add_f64_e64 v[8:9], v[18:19], -v[14:15]
	v_fma_f64 v[52:53], v[54:55], v[56:57], -v[26:27]
	v_fma_f64 v[54:55], v[48:49], v[60:61], -v[30:31]
	v_add_f64_e64 v[26:27], v[6:7], -v[10:11]
	v_add_f64_e64 v[4:5], v[22:23], -v[12:13]
	v_fma_f64 v[48:49], v[90:91], v[56:57], v[58:59]
	v_fma_f64 v[20:21], v[68:69], v[60:61], v[62:63]
	;; [unrolled: 1-line block ×3, first 2 shown]
	v_add_f64_e64 v[44:45], v[6:7], -v[92:93]
	v_add_f64_e64 v[56:57], v[10:11], -v[28:29]
	;; [unrolled: 1-line block ×5, first 2 shown]
	v_fma_f64 v[96:97], v[50:51], -0.5, v[32:33]
	v_fma_f64 v[70:71], v[70:71], -0.5, v[32:33]
	;; [unrolled: 1-line block ×4, first 2 shown]
	v_fma_f64 v[50:51], v[64:65], v[36:37], v[38:39]
	v_add_f64_e64 v[36:37], v[92:93], -v[6:7]
	v_add_f64_e64 v[38:39], v[28:29], -v[10:11]
	v_add_f64_e32 v[62:63], v[34:35], v[46:47]
	v_add_f64_e64 v[64:65], v[18:19], -v[22:23]
	v_add_f64_e32 v[68:69], v[52:53], v[54:55]
	v_add_f64_e32 v[66:67], v[66:67], v[92:93]
	;; [unrolled: 1-line block ×3, first 2 shown]
	v_add_f64_e64 v[92:93], v[48:49], -v[20:21]
	v_add_f64_e32 v[106:107], v[58:59], v[60:61]
	v_fma_f64 v[90:91], v[24:25], s[6:7], v[96:97]
	v_fma_f64 v[94:95], v[26:27], s[8:9], v[70:71]
	;; [unrolled: 1-line block ×6, first 2 shown]
	v_add_f64_e32 v[36:37], v[36:37], v[38:39]
	v_add_f64_e32 v[38:39], v[44:45], v[56:57]
	v_fma_f64 v[44:45], v[62:63], -0.5, v[0:1]
	v_add_f64_e32 v[84:85], v[64:65], v[84:85]
	v_fma_f64 v[56:57], v[4:5], s[8:9], v[88:89]
	v_add_f64_e64 v[102:103], v[50:51], -v[30:31]
	v_fma_f64 v[0:1], v[68:69], -0.5, v[0:1]
	v_fma_f64 v[62:63], v[26:27], s[6:7], v[70:71]
	v_add_f64_e64 v[88:89], v[52:53], -v[34:35]
	v_add_f64_e32 v[6:7], v[66:67], v[6:7]
	v_add_f64_e32 v[66:67], v[104:105], v[34:35]
	v_add_f64_e64 v[96:97], v[46:47], -v[54:55]
	v_fma_f64 v[64:65], v[26:27], s[12:13], v[90:91]
	v_fma_f64 v[68:69], v[24:25], s[12:13], v[94:95]
	;; [unrolled: 1-line block ×4, first 2 shown]
	v_add_f64_e64 v[90:91], v[54:55], -v[46:47]
	v_fma_f64 v[4:5], v[4:5], s[14:15], v[58:59]
	v_fma_f64 v[26:27], v[26:27], s[14:15], v[60:61]
	v_add_f64_e64 v[94:95], v[34:35], -v[52:53]
	v_fma_f64 v[98:99], v[92:93], s[8:9], v[44:45]
	v_fma_f64 v[44:45], v[92:93], s[6:7], v[44:45]
	;; [unrolled: 1-line block ×6, first 2 shown]
	v_add_f64_e32 v[6:7], v[6:7], v[10:11]
	v_add_f64_e32 v[10:11], v[66:67], v[46:47]
	v_fma_f64 v[60:61], v[106:107], s[18:19], v[64:65]
	v_fma_f64 v[62:63], v[84:85], s[18:19], v[68:69]
	;; [unrolled: 1-line block ×4, first 2 shown]
	v_add_f64_e32 v[86:87], v[88:89], v[90:91]
	v_fma_f64 v[68:69], v[38:39], s[18:19], v[4:5]
	v_fma_f64 v[64:65], v[106:107], s[18:19], v[26:27]
	v_add_f64_e32 v[88:89], v[94:95], v[96:97]
	v_fma_f64 v[90:91], v[102:103], s[14:15], v[98:99]
	v_fma_f64 v[44:45], v[102:103], s[12:13], v[44:45]
	v_fma_f64 v[70:71], v[36:37], s[18:19], v[8:9]
	v_fma_f64 v[94:95], v[92:93], s[14:15], v[100:101]
	v_fma_f64 v[0:1], v[92:93], s[12:13], v[0:1]
	v_fma_f64 v[66:67], v[84:85], s[18:19], v[24:25]
	v_add_f64_e32 v[6:7], v[6:7], v[28:29]
	v_add_f64_e32 v[10:11], v[10:11], v[54:55]
	v_add3_u32 v85, v2, v3, v77
	v_add_nc_u32_e32 v84, 0xc00, v76
	v_mul_f64_e32 v[4:5], s[14:15], v[60:61]
	v_mul_f64_e32 v[8:9], s[8:9], v[62:63]
	;; [unrolled: 1-line block ×4, first 2 shown]
	v_fma_f64 v[28:29], v[86:87], s[18:19], v[90:91]
	v_fma_f64 v[36:37], v[86:87], s[18:19], v[44:45]
	;; [unrolled: 1-line block ×4, first 2 shown]
	v_add_f64_e32 v[44:45], v[10:11], v[6:7]
	v_add_f64_e64 v[6:7], v[10:11], -v[6:7]
	v_fma_f64 v[4:5], v[70:71], s[20:21], v[4:5]
	v_fma_f64 v[8:9], v[68:69], s[18:19], v[8:9]
	v_fma_f64 v[24:25], v[66:67], s[8:9], -v[24:25]
	v_fma_f64 v[26:27], v[64:65], s[14:15], -v[26:27]
	s_delay_alu instid0(VALU_DEP_4) | instskip(NEXT) | instid1(VALU_DEP_4)
	v_add_f64_e32 v[10:11], v[28:29], v[4:5]
	v_add_f64_e32 v[86:87], v[38:39], v[8:9]
	s_delay_alu instid0(VALU_DEP_4) | instskip(NEXT) | instid1(VALU_DEP_4)
	v_add_f64_e32 v[88:89], v[0:1], v[24:25]
	v_add_f64_e32 v[90:91], v[36:37], v[26:27]
	v_add_f64_e64 v[4:5], v[28:29], -v[4:5]
	v_add_f64_e64 v[8:9], v[38:39], -v[8:9]
	;; [unrolled: 1-line block ×4, first 2 shown]
                                        ; implicit-def: $vgpr38_vgpr39
	ds_store_2addr_b64 v85, v[44:45], v[10:11] offset1:10
	ds_store_2addr_b64 v85, v[86:87], v[88:89] offset0:20 offset1:30
	ds_store_2addr_b64 v85, v[90:91], v[6:7] offset0:40 offset1:50
	;; [unrolled: 1-line block ×4, first 2 shown]
	global_wb scope:SCOPE_SE
	s_wait_dscnt 0x0
	s_barrier_signal -1
	s_barrier_wait -1
	global_inv scope:SCOPE_SE
	ds_load_2addr_b64 v[4:7], v83 offset0:44 offset1:134
	ds_load_2addr_b64 v[0:3], v84 offset0:96 offset1:216
	;; [unrolled: 1-line block ×3, first 2 shown]
	ds_load_b64 v[36:37], v79
	ds_load_b64 v[28:29], v80
	;; [unrolled: 1-line block ×3, first 2 shown]
                                        ; implicit-def: $vgpr44_vgpr45
	s_and_saveexec_b32 s1, s0
	s_cbranch_execz .LBB0_15
; %bb.14:
	ds_load_b64 v[24:25], v78
	ds_load_b64 v[44:45], v76 offset:4560
	ds_load_b64 v[38:39], v76 offset:6960
.LBB0_15:
	s_wait_alu 0xfffe
	s_or_b32 exec_lo, exec_lo, s1
	v_add_f64_e32 v[86:87], v[50:51], v[30:31]
	v_add_f64_e32 v[88:89], v[48:49], v[20:21]
	;; [unrolled: 1-line block ×3, first 2 shown]
	v_add_f64_e64 v[52:53], v[52:53], -v[54:55]
	v_add_f64_e32 v[22:23], v[32:33], v[22:23]
	v_add_f64_e64 v[32:33], v[34:35], -v[46:47]
	v_add_f64_e64 v[46:47], v[48:49], -v[50:51]
	;; [unrolled: 1-line block ×4, first 2 shown]
	v_mul_f64_e32 v[70:71], s[12:13], v[70:71]
	v_mul_f64_e32 v[68:69], s[6:7], v[68:69]
	;; [unrolled: 1-line block ×4, first 2 shown]
	global_wb scope:SCOPE_SE
	s_wait_dscnt 0x0
	s_barrier_signal -1
	s_barrier_wait -1
	global_inv scope:SCOPE_SE
	v_fma_f64 v[34:35], v[86:87], -0.5, v[16:17]
	v_fma_f64 v[16:17], v[88:89], -0.5, v[16:17]
	v_add_f64_e32 v[50:51], v[90:91], v[50:51]
	v_add_f64_e32 v[18:19], v[22:23], v[18:19]
	v_add_f64_e64 v[22:23], v[30:31], -v[20:21]
	v_add_f64_e32 v[46:47], v[46:47], v[54:55]
	v_fma_f64 v[86:87], v[52:53], s[6:7], v[34:35]
	v_fma_f64 v[88:89], v[32:33], s[8:9], v[16:17]
	;; [unrolled: 1-line block ×4, first 2 shown]
	v_add_f64_e32 v[30:31], v[50:51], v[30:31]
	v_add_f64_e32 v[14:15], v[18:19], v[14:15]
	;; [unrolled: 1-line block ×3, first 2 shown]
	v_fma_f64 v[50:51], v[62:63], s[18:19], v[68:69]
	v_fma_f64 v[22:23], v[32:33], s[12:13], v[86:87]
	v_fma_f64 v[48:49], v[52:53], s[12:13], v[88:89]
	v_fma_f64 v[16:17], v[52:53], s[14:15], v[16:17]
	v_fma_f64 v[32:33], v[32:33], s[14:15], v[34:35]
	v_fma_f64 v[34:35], v[60:61], s[20:21], v[70:71]
	v_add_f64_e32 v[20:21], v[30:31], v[20:21]
	v_add_f64_e32 v[12:13], v[14:15], v[12:13]
	v_fma_f64 v[52:53], v[58:59], s[6:7], -v[66:67]
	v_fma_f64 v[14:15], v[56:57], s[12:13], -v[64:65]
	v_fma_f64 v[22:23], v[46:47], s[18:19], v[22:23]
	v_fma_f64 v[30:31], v[18:19], s[18:19], v[48:49]
	;; [unrolled: 1-line block ×4, first 2 shown]
	v_add_f64_e32 v[32:33], v[20:21], v[12:13]
	v_add_f64_e64 v[12:13], v[20:21], -v[12:13]
	v_add_f64_e32 v[20:21], v[22:23], v[34:35]
	v_add_f64_e32 v[46:47], v[30:31], v[50:51]
	;; [unrolled: 1-line block ×4, first 2 shown]
	v_add_f64_e64 v[22:23], v[22:23], -v[34:35]
	v_add_f64_e64 v[34:35], v[30:31], -v[50:51]
	;; [unrolled: 1-line block ×4, first 2 shown]
                                        ; implicit-def: $vgpr52_vgpr53
	ds_store_2addr_b64 v85, v[32:33], v[20:21] offset1:10
	ds_store_2addr_b64 v85, v[46:47], v[48:49] offset0:20 offset1:30
	ds_store_2addr_b64 v85, v[54:55], v[12:13] offset0:40 offset1:50
	;; [unrolled: 1-line block ×4, first 2 shown]
	global_wb scope:SCOPE_SE
	s_wait_dscnt 0x0
	s_barrier_signal -1
	s_barrier_wait -1
	global_inv scope:SCOPE_SE
	ds_load_2addr_b64 v[20:23], v83 offset0:44 offset1:134
	ds_load_2addr_b64 v[16:19], v84 offset0:96 offset1:216
	;; [unrolled: 1-line block ×3, first 2 shown]
	ds_load_b64 v[46:47], v79
	ds_load_b64 v[34:35], v80
	;; [unrolled: 1-line block ×3, first 2 shown]
                                        ; implicit-def: $vgpr48_vgpr49
	s_and_saveexec_b32 s1, s0
	s_cbranch_execz .LBB0_17
; %bb.16:
	ds_load_b64 v[30:31], v78
	ds_load_b64 v[52:53], v76 offset:4560
	ds_load_b64 v[48:49], v76 offset:6960
.LBB0_17:
	s_wait_alu 0xfffe
	s_or_b32 exec_lo, exec_lo, s1
	v_lshrrev_b16 v50, 2, v75
	v_lshrrev_b16 v51, 2, v73
	v_add_nc_u32_e32 v55, -10, v72
	v_cmp_gt_u32_e64 s1, 10, v72
	s_mov_b32 s6, 0xe8584caa
	v_and_b32_e32 v54, 0xffff, v50
	v_and_b32_e32 v51, 0xffff, v51
	v_lshlrev_b32_e32 v50, 1, v72
	s_wait_alu 0xf1ff
	v_cndmask_b32_e64 v118, v55, v74, s1
	s_mov_b32 s7, 0x3febb67a
	s_mov_b32 s9, 0xbfebb67a
	v_mul_u32_u24_e32 v56, 0x147b, v51
	v_mov_b32_e32 v51, 0
	v_mul_u32_u24_e32 v54, 0x147b, v54
	s_wait_alu 0xfffe
	s_mov_b32 s8, s6
	v_lshrrev_b32_e32 v56, 17, v56
	s_delay_alu instid0(VALU_DEP_2) | instskip(SKIP_2) | instid1(VALU_DEP_4)
	v_lshrrev_b32_e32 v119, 17, v54
	v_lshlrev_b64_e32 v[54:55], 4, v[50:51]
	v_lshlrev_b32_e32 v50, 1, v118
	v_mul_lo_u16 v59, 0x64, v56
	s_delay_alu instid0(VALU_DEP_4) | instskip(NEXT) | instid1(VALU_DEP_3)
	v_mul_lo_u16 v58, 0x64, v119
	v_lshlrev_b64_e32 v[56:57], 4, v[50:51]
	s_delay_alu instid0(VALU_DEP_3) | instskip(SKIP_1) | instid1(VALU_DEP_4)
	v_sub_nc_u16 v59, v73, v59
	v_add_co_u32 v50, s1, s4, v54
	v_sub_nc_u16 v58, v75, v58
	s_wait_alu 0xf1ff
	v_add_co_ci_u32_e64 v51, s1, s5, v55, s1
	v_add_co_u32 v54, s1, s4, v56
	s_delay_alu instid0(VALU_DEP_3)
	v_and_b32_e32 v120, 0xffff, v58
	v_and_b32_e32 v121, 0xffff, v59
	s_wait_alu 0xf1ff
	v_add_co_ci_u32_e64 v55, s1, s5, v57, s1
	s_clause 0x1
	global_load_b128 v[82:85], v[50:51], off offset:1440
	global_load_b128 v[86:89], v[50:51], off offset:1456
	v_lshlrev_b32_e32 v56, 5, v120
	v_lshlrev_b32_e32 v57, 5, v121
	s_clause 0x5
	global_load_b128 v[90:93], v[54:55], off offset:1440
	global_load_b128 v[94:97], v[54:55], off offset:1456
	global_load_b128 v[98:101], v56, s[4:5] offset:1440
	global_load_b128 v[102:105], v56, s[4:5] offset:1456
	global_load_b128 v[106:109], v57, s[4:5] offset:1440
	global_load_b128 v[110:113], v57, s[4:5] offset:1456
	v_cmp_lt_u32_e64 s1, 9, v72
	global_wb scope:SCOPE_SE
	s_wait_loadcnt_dscnt 0x0
	s_barrier_signal -1
	s_barrier_wait -1
	global_inv scope:SCOPE_SE
	v_mul_f64_e32 v[54:55], v[20:21], v[84:85]
	v_mul_f64_e32 v[56:57], v[18:19], v[88:89]
	v_mul_f64_e32 v[58:59], v[22:23], v[92:93]
	v_mul_f64_e32 v[60:61], v[12:13], v[96:97]
	v_mul_f64_e32 v[64:65], v[16:17], v[100:101]
	v_mul_f64_e32 v[70:71], v[14:15], v[104:105]
	v_mul_f64_e32 v[114:115], v[52:53], v[108:109]
	v_mul_f64_e32 v[116:117], v[48:49], v[112:113]
	v_mul_f64_e32 v[84:85], v[4:5], v[84:85]
	v_mul_f64_e32 v[88:89], v[2:3], v[88:89]
	v_mul_f64_e32 v[92:93], v[6:7], v[92:93]
	v_mul_f64_e32 v[96:97], v[8:9], v[96:97]
	v_mul_f64_e32 v[100:101], v[0:1], v[100:101]
	v_mul_f64_e32 v[104:105], v[10:11], v[104:105]
	v_mul_f64_e32 v[108:109], v[44:45], v[108:109]
	v_mul_f64_e32 v[112:113], v[38:39], v[112:113]
	v_fma_f64 v[66:67], v[4:5], v[82:83], -v[54:55]
	v_fma_f64 v[68:69], v[2:3], v[86:87], -v[56:57]
	;; [unrolled: 1-line block ×8, first 2 shown]
	v_fma_f64 v[20:21], v[20:21], v[82:83], v[84:85]
	v_fma_f64 v[18:19], v[18:19], v[86:87], v[88:89]
	v_fma_f64 v[22:23], v[22:23], v[90:91], v[92:93]
	v_fma_f64 v[12:13], v[12:13], v[94:95], v[96:97]
	v_fma_f64 v[16:17], v[16:17], v[98:99], v[100:101]
	v_fma_f64 v[14:15], v[14:15], v[102:103], v[104:105]
	v_fma_f64 v[52:53], v[52:53], v[106:107], v[108:109]
	v_fma_f64 v[48:49], v[48:49], v[110:111], v[112:113]
	v_add_f64_e32 v[8:9], v[36:37], v[66:67]
	v_add_f64_e32 v[0:1], v[66:67], v[68:69]
	;; [unrolled: 1-line block ×8, first 2 shown]
	v_add_f64_e64 v[10:11], v[20:21], -v[18:19]
	v_add_f64_e64 v[82:83], v[52:53], -v[48:49]
	v_add_f64_e32 v[8:9], v[8:9], v[68:69]
	v_fma_f64 v[0:1], v[0:1], -0.5, v[36:37]
	v_add_f64_e64 v[36:37], v[22:23], -v[12:13]
	v_fma_f64 v[2:3], v[2:3], -0.5, v[28:29]
	v_add_f64_e64 v[28:29], v[16:17], -v[14:15]
	v_fma_f64 v[4:5], v[4:5], -0.5, v[26:27]
	v_add_f64_e32 v[38:39], v[38:39], v[62:63]
	v_fma_f64 v[6:7], v[6:7], -0.5, v[24:25]
	v_add_f64_e32 v[24:25], v[70:71], v[60:61]
	v_add_f64_e32 v[44:45], v[44:45], v[64:65]
	v_lshlrev_b32_e32 v70, 3, v121
	v_fma_f64 v[84:85], v[10:11], s[6:7], v[0:1]
	s_wait_alu 0xfffe
	v_fma_f64 v[0:1], v[10:11], s[8:9], v[0:1]
	v_fma_f64 v[10:11], v[36:37], s[6:7], v[2:3]
	;; [unrolled: 1-line block ×7, first 2 shown]
	s_wait_alu 0xf1ff
	v_cndmask_b32_e64 v6, 0, 0x960, s1
	v_lshlrev_b32_e32 v7, 3, v118
	s_delay_alu instid0(VALU_DEP_2) | instskip(NEXT) | instid1(VALU_DEP_1)
	v_add_nc_u32_e32 v6, 0, v6
	v_add3_u32 v71, v6, v7, v77
	v_mad_u32_u24 v6, 0x960, v119, 0
	v_lshlrev_b32_e32 v7, 3, v120
	s_delay_alu instid0(VALU_DEP_1)
	v_add3_u32 v82, v6, v7, v77
	ds_store_2addr_b64 v76, v[8:9], v[84:85] offset1:100
	ds_store_b64 v76, v[0:1] offset:1600
	ds_store_2addr_b64 v71, v[38:39], v[10:11] offset1:100
	ds_store_b64 v71, v[2:3] offset:1600
	;; [unrolled: 2-line block ×3, first 2 shown]
	s_and_saveexec_b32 s1, s0
	s_cbranch_execz .LBB0_19
; %bb.18:
	v_add3_u32 v0, 0, v70, v77
	s_delay_alu instid0(VALU_DEP_1)
	v_add_nc_u32_e32 v1, 0x1000, v0
	ds_store_2addr_b64 v1, v[24:25], v[26:27] offset0:88 offset1:188
	ds_store_b64 v0, v[28:29] offset:6400
.LBB0_19:
	s_wait_alu 0xfffe
	s_or_b32 exec_lo, exec_lo, s1
	v_add_nc_u32_e32 v0, 0x800, v76
	v_add_nc_u32_e32 v4, 0xc00, v76
	;; [unrolled: 1-line block ×3, first 2 shown]
	global_wb scope:SCOPE_SE
	s_wait_dscnt 0x0
	s_barrier_signal -1
	s_barrier_wait -1
	global_inv scope:SCOPE_SE
	ds_load_2addr_b64 v[0:3], v0 offset0:44 offset1:134
	ds_load_2addr_b64 v[8:11], v4 offset0:96 offset1:216
	;; [unrolled: 1-line block ×3, first 2 shown]
	ds_load_b64 v[44:45], v79
	ds_load_b64 v[36:37], v80
	;; [unrolled: 1-line block ×3, first 2 shown]
	s_and_saveexec_b32 s1, s0
	s_cbranch_execz .LBB0_21
; %bb.20:
	ds_load_b64 v[24:25], v78
	ds_load_b64 v[26:27], v76 offset:4560
	ds_load_b64 v[28:29], v76 offset:6960
.LBB0_21:
	s_wait_alu 0xfffe
	s_or_b32 exec_lo, exec_lo, s1
	v_add_f64_e32 v[83:84], v[20:21], v[18:19]
	v_add_f64_e32 v[85:86], v[22:23], v[12:13]
	;; [unrolled: 1-line block ×5, first 2 shown]
	v_add_f64_e64 v[66:67], v[66:67], -v[68:69]
	v_add_f64_e32 v[22:23], v[34:35], v[22:23]
	v_add_f64_e32 v[16:17], v[32:33], v[16:17]
	;; [unrolled: 1-line block ×3, first 2 shown]
	v_add_f64_e64 v[56:57], v[56:57], -v[62:63]
	v_add_f64_e64 v[58:59], v[58:59], -v[64:65]
	;; [unrolled: 1-line block ×3, first 2 shown]
	s_mov_b32 s6, 0xe8584caa
	s_mov_b32 s7, 0xbfebb67a
	s_mov_b32 s9, 0x3febb67a
	s_wait_alu 0xfffe
	s_mov_b32 s8, s6
	global_wb scope:SCOPE_SE
	s_wait_dscnt 0x0
	s_barrier_signal -1
	s_barrier_wait -1
	global_inv scope:SCOPE_SE
	v_fma_f64 v[46:47], v[83:84], -0.5, v[46:47]
	v_fma_f64 v[34:35], v[85:86], -0.5, v[34:35]
	;; [unrolled: 1-line block ×4, first 2 shown]
	v_add_f64_e32 v[18:19], v[20:21], v[18:19]
	v_add_f64_e32 v[12:13], v[22:23], v[12:13]
	;; [unrolled: 1-line block ×4, first 2 shown]
	v_fma_f64 v[16:17], v[66:67], s[6:7], v[46:47]
	s_wait_alu 0xfffe
	v_fma_f64 v[20:21], v[66:67], s[8:9], v[46:47]
	v_fma_f64 v[22:23], v[56:57], s[6:7], v[34:35]
	;; [unrolled: 1-line block ×7, first 2 shown]
	ds_store_2addr_b64 v76, v[18:19], v[16:17] offset1:100
	ds_store_b64 v76, v[20:21] offset:1600
	ds_store_2addr_b64 v71, v[12:13], v[22:23] offset1:100
	ds_store_b64 v71, v[46:47] offset:1600
	;; [unrolled: 2-line block ×3, first 2 shown]
	s_and_saveexec_b32 s1, s0
	s_cbranch_execz .LBB0_23
; %bb.22:
	v_add3_u32 v12, 0, v70, v77
	s_delay_alu instid0(VALU_DEP_1)
	v_add_nc_u32_e32 v13, 0x1000, v12
	ds_store_2addr_b64 v13, v[30:31], v[32:33] offset0:88 offset1:188
	ds_store_b64 v12, v[34:35] offset:6400
.LBB0_23:
	s_wait_alu 0xfffe
	s_or_b32 exec_lo, exec_lo, s1
	v_add_nc_u32_e32 v12, 0x800, v76
	v_add_nc_u32_e32 v16, 0xc00, v76
	;; [unrolled: 1-line block ×3, first 2 shown]
	global_wb scope:SCOPE_SE
	s_wait_dscnt 0x0
	s_barrier_signal -1
	s_barrier_wait -1
	global_inv scope:SCOPE_SE
	ds_load_2addr_b64 v[12:15], v12 offset0:44 offset1:134
	ds_load_2addr_b64 v[20:23], v16 offset0:96 offset1:216
	;; [unrolled: 1-line block ×3, first 2 shown]
	ds_load_b64 v[54:55], v79
	ds_load_b64 v[48:49], v80
	;; [unrolled: 1-line block ×3, first 2 shown]
	s_and_saveexec_b32 s1, s0
	s_cbranch_execz .LBB0_25
; %bb.24:
	ds_load_b64 v[30:31], v78
	ds_load_b64 v[32:33], v76 offset:4560
	ds_load_b64 v[34:35], v76 offset:6960
.LBB0_25:
	s_wait_alu 0xfffe
	s_or_b32 exec_lo, exec_lo, s1
	s_and_saveexec_b32 s1, vcc_lo
	s_cbranch_execz .LBB0_28
; %bb.26:
	v_dual_mov_b32 v47, 0 :: v_dual_lshlrev_b32 v46, 1, v75
	s_clause 0x1
	global_load_b128 v[56:59], v[50:51], off offset:4656
	global_load_b128 v[60:63], v[50:51], off offset:4640
	v_mul_hi_u32 v92, 0x1b4e81b5, v72
	v_add_nc_u32_e32 v95, 0x5a, v72
	v_mul_lo_u32 v94, s2, v43
	v_lshlrev_b64_e32 v[64:65], 4, v[46:47]
	v_lshlrev_b32_e32 v46, 1, v74
	s_mov_b32 s7, 0xbfebb67a
	v_mul_hi_u32 v97, 0x1b4e81b5, v95
	v_lshrrev_b32_e32 v99, 5, v92
	s_delay_alu instid0(VALU_DEP_3) | instskip(SKIP_4) | instid1(VALU_DEP_4)
	v_lshlrev_b64_e32 v[50:51], 4, v[46:47]
	v_add_co_u32 v68, vcc_lo, s4, v64
	s_wait_alu 0xfffd
	v_add_co_ci_u32_e32 v69, vcc_lo, s5, v65, vcc_lo
	v_mul_lo_u32 v46, s3, v42
	v_add_co_u32 v50, vcc_lo, s4, v50
	s_wait_alu 0xfffd
	v_add_co_ci_u32_e32 v51, vcc_lo, s5, v51, vcc_lo
	s_clause 0x3
	global_load_b128 v[64:67], v[68:69], off offset:4640
	global_load_b128 v[68:71], v[68:69], off offset:4656
	;; [unrolled: 1-line block ×4, first 2 shown]
	v_mad_co_u64_u32 v[42:43], null, s2, v42, 0
	v_lshlrev_b64_e32 v[92:93], 4, v[40:41]
	s_mov_b32 s2, 0xe8584caa
	s_mov_b32 s3, 0x3febb67a
	s_wait_alu 0xfffe
	s_mov_b32 s6, s2
	s_delay_alu instid0(VALU_DEP_2) | instskip(SKIP_2) | instid1(VALU_DEP_3)
	v_add3_u32 v43, v43, v94, v46
	v_mul_u32_u24_e32 v46, 0x12c, v99
	v_lshrrev_b32_e32 v94, 5, v97
	v_lshlrev_b64_e32 v[41:42], 4, v[42:43]
	s_delay_alu instid0(VALU_DEP_3) | instskip(NEXT) | instid1(VALU_DEP_3)
	v_sub_nc_u32_e32 v43, v72, v46
	v_mul_u32_u24_e32 v46, 0x12c, v94
	s_delay_alu instid0(VALU_DEP_2) | instskip(NEXT) | instid1(VALU_DEP_2)
	v_add_nc_u32_e32 v101, 0x12c, v43
	v_sub_nc_u32_e32 v46, v95, v46
	v_add_co_u32 v99, s1, s10, v41
	s_wait_alu 0xf1ff
	v_add_co_ci_u32_e64 v100, s1, s11, v42, s1
	s_delay_alu instid0(VALU_DEP_3)
	v_mad_u32_u24 v46, 0x384, v94, v46
	v_mad_co_u64_u32 v[41:42], null, s16, v43, 0
	s_wait_loadcnt_dscnt 0x504
	v_mul_f64_e32 v[82:83], v[22:23], v[58:59]
	s_wait_loadcnt 0x4
	v_mul_f64_e32 v[50:51], v[12:13], v[62:63]
	v_mul_f64_e32 v[62:63], v[0:1], v[62:63]
	;; [unrolled: 1-line block ×3, first 2 shown]
	s_wait_loadcnt 0x3
	v_mul_f64_e32 v[84:85], v[20:21], v[66:67]
	s_wait_loadcnt_dscnt 0x203
	v_mul_f64_e32 v[86:87], v[18:19], v[70:71]
	v_mul_f64_e32 v[70:71], v[6:7], v[70:71]
	s_wait_loadcnt 0x1
	v_mul_f64_e32 v[88:89], v[14:15], v[76:77]
	s_wait_loadcnt 0x0
	v_mul_f64_e32 v[90:91], v[16:17], v[80:81]
	v_mul_f64_e32 v[76:77], v[2:3], v[76:77]
	;; [unrolled: 1-line block ×4, first 2 shown]
	v_fma_f64 v[10:11], v[10:11], v[56:57], -v[82:83]
	v_fma_f64 v[50:51], v[0:1], v[60:61], -v[50:51]
	v_fma_f64 v[12:13], v[12:13], v[60:61], v[62:63]
	v_fma_f64 v[22:23], v[22:23], v[56:57], v[58:59]
	v_mad_co_u64_u32 v[60:61], null, s16, v46, 0
	v_add_nc_u32_e32 v96, 0xb4, v72
	v_add_co_u32 v0, s1, v99, v92
	s_wait_alu 0xf1ff
	v_add_co_ci_u32_e64 v1, s1, v100, v93, s1
	v_fma_f64 v[8:9], v[8:9], v[64:65], -v[84:85]
	v_fma_f64 v[6:7], v[6:7], v[68:69], -v[86:87]
	v_fma_f64 v[18:19], v[18:19], v[68:69], v[70:71]
	v_fma_f64 v[2:3], v[2:3], v[74:75], -v[88:89]
	v_fma_f64 v[56:57], v[4:5], v[78:79], -v[90:91]
	v_fma_f64 v[4:5], v[14:15], v[74:75], v[76:77]
	v_fma_f64 v[14:15], v[16:17], v[78:79], v[80:81]
	v_mad_co_u64_u32 v[16:17], null, s16, v101, 0
	v_fma_f64 v[20:21], v[20:21], v[64:65], v[66:67]
	v_add_nc_u32_e32 v91, 0x12c, v46
	s_delay_alu instid0(VALU_DEP_1)
	v_mad_co_u64_u32 v[64:65], null, s16, v91, 0
	v_add_f64_e32 v[74:75], v[50:51], v[10:11]
	v_add_f64_e32 v[70:71], v[12:13], v[22:23]
	;; [unrolled: 1-line block ×3, first 2 shown]
	v_mad_co_u64_u32 v[82:83], null, s17, v101, v[17:18]
	v_mov_b32_e32 v17, v61
	v_mul_hi_u32 v98, 0x1b4e81b5, v96
	v_add_f64_e32 v[83:84], v[4:5], v[14:15]
	v_add_f64_e32 v[85:86], v[2:3], v[56:57]
	s_wait_dscnt 0x1
	v_add_f64_e32 v[100:101], v[48:49], v[4:5]
	v_add_f64_e32 v[78:79], v[20:21], v[18:19]
	v_add_f64_e64 v[104:105], v[4:5], -v[14:15]
	v_lshrrev_b32_e32 v97, 5, v98
	s_delay_alu instid0(VALU_DEP_1) | instskip(NEXT) | instid1(VALU_DEP_1)
	v_mul_u32_u24_e32 v98, 0x12c, v97
	v_sub_nc_u32_e32 v95, v96, v98
	v_add_f64_e32 v[98:99], v[38:39], v[8:9]
	s_delay_alu instid0(VALU_DEP_2)
	v_mad_u32_u24 v90, 0x384, v97, v95
	v_add_f64_e32 v[94:95], v[54:55], v[12:13]
	v_add_f64_e64 v[96:97], v[12:13], -v[22:23]
	v_add_f64_e32 v[12:13], v[44:45], v[50:51]
	v_fma_f64 v[54:55], v[70:71], -0.5, v[54:55]
	v_add_nc_u32_e32 v107, 0x258, v90
	v_mad_co_u64_u32 v[62:63], null, s16, v90, 0
	v_add_nc_u32_e32 v40, 0x10e, v72
	v_add_f64_e64 v[70:71], v[8:9], -v[6:7]
	s_delay_alu instid0(VALU_DEP_4) | instskip(SKIP_3) | instid1(VALU_DEP_3)
	v_mad_co_u64_u32 v[76:77], null, s16, v107, 0
	v_add_nc_u32_e32 v106, 0x12c, v90
	v_fma_f64 v[80:81], v[80:81], -0.5, v[38:39]
	v_fma_f64 v[48:49], v[83:84], -0.5, v[48:49]
	v_mad_co_u64_u32 v[68:69], null, s16, v106, 0
	v_add_nc_u32_e32 v92, 0x258, v46
	s_delay_alu instid0(VALU_DEP_1) | instskip(SKIP_2) | instid1(VALU_DEP_3)
	v_mad_co_u64_u32 v[66:67], null, s16, v92, 0
	v_add_nc_u32_e32 v102, 0x258, v43
	v_mad_co_u64_u32 v[42:43], null, s17, v43, v[42:43]
	v_mov_b32_e32 v61, v67
	s_delay_alu instid0(VALU_DEP_3) | instskip(NEXT) | instid1(VALU_DEP_3)
	v_mad_co_u64_u32 v[58:59], null, s16, v102, 0
	v_lshlrev_b64_e32 v[41:42], 4, v[41:42]
	v_add_f64_e32 v[6:7], v[98:99], v[6:7]
	s_delay_alu instid0(VALU_DEP_3) | instskip(NEXT) | instid1(VALU_DEP_3)
	v_mov_b32_e32 v43, v59
	v_add_co_u32 v84, s1, v0, v41
	s_delay_alu instid0(VALU_DEP_2) | instskip(SKIP_4) | instid1(VALU_DEP_4)
	v_mad_co_u64_u32 v[87:88], null, s17, v102, v[43:44]
	v_mov_b32_e32 v43, v63
	v_mad_co_u64_u32 v[88:89], null, s17, v46, v[17:18]
	v_mov_b32_e32 v46, v65
	v_add_f64_e32 v[102:103], v[36:37], v[2:3]
	v_mad_co_u64_u32 v[89:90], null, s17, v90, v[43:44]
	v_fma_f64 v[44:45], v[74:75], -0.5, v[44:45]
	s_delay_alu instid0(VALU_DEP_4)
	v_mad_co_u64_u32 v[90:91], null, s17, v91, v[46:47]
	v_mov_b32_e32 v43, v69
	v_mad_co_u64_u32 v[91:92], null, s17, v92, v[61:62]
	v_add_f64_e64 v[92:93], v[50:51], -v[10:11]
	s_wait_dscnt 0x0
	v_add_f64_e32 v[50:51], v[52:53], v[20:21]
	v_mov_b32_e32 v17, v82
	v_fma_f64 v[52:53], v[78:79], -0.5, v[52:53]
	v_add_f64_e64 v[78:79], v[2:3], -v[56:57]
	v_fma_f64 v[82:83], v[85:86], -0.5, v[36:37]
	v_add_f64_e64 v[74:75], v[20:21], -v[18:19]
	v_mov_b32_e32 v63, v77
	s_wait_alu 0xf1ff
	v_add_co_ci_u32_e64 v85, s1, v1, v42, s1
	v_mov_b32_e32 v59, v87
	v_mov_b32_e32 v61, v88
	;; [unrolled: 1-line block ×4, first 2 shown]
	v_cmp_gt_u32_e32 vcc_lo, 0x12c, v40
	v_lshlrev_b64_e32 v[58:59], 4, v[58:59]
	v_lshlrev_b64_e32 v[60:61], 4, v[60:61]
	v_mad_co_u64_u32 v[2:3], null, s17, v106, v[43:44]
	v_mad_co_u64_u32 v[3:4], null, s17, v107, v[63:64]
	v_lshlrev_b64_e32 v[4:5], 4, v[16:17]
	v_mov_b32_e32 v63, v89
	s_wait_alu 0xfffe
	v_fma_f64 v[20:21], v[92:93], s[6:7], v[54:55]
	v_add_f64_e32 v[8:9], v[50:51], v[18:19]
	v_mov_b32_e32 v69, v2
	v_fma_f64 v[18:19], v[96:97], s[2:3], v[44:45]
	v_add_co_u32 v86, s1, v0, v4
	v_mov_b32_e32 v77, v3
	s_wait_alu 0xf1ff
	v_add_co_ci_u32_e64 v87, s1, v1, v5, s1
	v_add_f64_e32 v[4:5], v[94:95], v[22:23]
	v_add_f64_e32 v[2:3], v[12:13], v[10:11]
	;; [unrolled: 1-line block ×3, first 2 shown]
	v_fma_f64 v[16:17], v[92:93], s[2:3], v[54:55]
	v_fma_f64 v[14:15], v[96:97], s[6:7], v[44:45]
	v_add_f64_e32 v[10:11], v[102:103], v[56:57]
	v_fma_f64 v[38:39], v[70:71], s[2:3], v[52:53]
	v_fma_f64 v[43:44], v[70:71], s[6:7], v[52:53]
	;; [unrolled: 1-line block ×8, first 2 shown]
	v_lshlrev_b64_e32 v[62:63], 4, v[62:63]
	v_add_co_u32 v22, s1, v0, v58
	s_wait_alu 0xf1ff
	v_add_co_ci_u32_e64 v23, s1, v1, v59, s1
	v_lshlrev_b64_e32 v[45:46], 4, v[64:65]
	v_add_co_u32 v60, s1, v0, v60
	s_wait_alu 0xf1ff
	v_add_co_ci_u32_e64 v61, s1, v1, v61, s1
	;; [unrolled: 4-line block ×5, first 2 shown]
	v_add_co_u32 v58, s1, v0, v58
	s_wait_alu 0xf1ff
	v_add_co_ci_u32_e64 v59, s1, v1, v59, s1
	v_add_co_u32 v64, s1, v0, v64
	s_wait_alu 0xf1ff
	v_add_co_ci_u32_e64 v65, s1, v1, v65, s1
	s_clause 0x8
	global_store_b128 v[84:85], v[2:5], off
	global_store_b128 v[86:87], v[18:21], off
	global_store_b128 v[22:23], v[14:17], off
	global_store_b128 v[60:61], v[10:13], off
	global_store_b128 v[45:46], v[52:55], off
	global_store_b128 v[56:57], v[48:51], off
	global_store_b128 v[62:63], v[6:9], off
	global_store_b128 v[58:59], v[41:44], off
	global_store_b128 v[64:65], v[36:39], off
	s_and_b32 exec_lo, exec_lo, vcc_lo
	s_cbranch_execz .LBB0_28
; %bb.27:
	v_subrev_nc_u32_e32 v2, 30, v72
	s_delay_alu instid0(VALU_DEP_1) | instskip(NEXT) | instid1(VALU_DEP_1)
	v_cndmask_b32_e64 v2, v2, v73, s0
	v_lshlrev_b32_e32 v46, 1, v2
	s_delay_alu instid0(VALU_DEP_1) | instskip(NEXT) | instid1(VALU_DEP_1)
	v_lshlrev_b64_e32 v[2:3], 4, v[46:47]
	v_add_co_u32 v6, vcc_lo, s4, v2
	s_wait_alu 0xfffd
	s_delay_alu instid0(VALU_DEP_2)
	v_add_co_ci_u32_e32 v7, vcc_lo, s5, v3, vcc_lo
	s_clause 0x1
	global_load_b128 v[2:5], v[6:7], off offset:4640
	global_load_b128 v[6:9], v[6:7], off offset:4656
	s_wait_loadcnt 0x1
	v_mul_f64_e32 v[10:11], v[32:33], v[4:5]
	s_wait_loadcnt 0x0
	v_mul_f64_e32 v[12:13], v[34:35], v[8:9]
	v_mul_f64_e32 v[4:5], v[26:27], v[4:5]
	;; [unrolled: 1-line block ×3, first 2 shown]
	s_delay_alu instid0(VALU_DEP_4) | instskip(NEXT) | instid1(VALU_DEP_4)
	v_fma_f64 v[10:11], v[26:27], v[2:3], -v[10:11]
	v_fma_f64 v[12:13], v[28:29], v[6:7], -v[12:13]
	s_delay_alu instid0(VALU_DEP_4) | instskip(NEXT) | instid1(VALU_DEP_4)
	v_fma_f64 v[2:3], v[32:33], v[2:3], v[4:5]
	v_fma_f64 v[4:5], v[34:35], v[6:7], v[8:9]
	v_add_nc_u32_e32 v32, 0x23a, v72
	v_mad_co_u64_u32 v[26:27], null, s16, v40, 0
	s_delay_alu instid0(VALU_DEP_2)
	v_mad_co_u64_u32 v[28:29], null, s16, v32, 0
	v_add_nc_u32_e32 v33, 0x366, v72
	v_add_f64_e32 v[14:15], v[24:25], v[10:11]
	v_add_f64_e32 v[6:7], v[10:11], v[12:13]
	;; [unrolled: 1-line block ×4, first 2 shown]
	v_add_f64_e64 v[16:17], v[2:3], -v[4:5]
	v_add_f64_e64 v[22:23], v[10:11], -v[12:13]
	v_add_f64_e32 v[2:3], v[14:15], v[12:13]
	v_mov_b32_e32 v14, v29
	v_fma_f64 v[20:21], v[6:7], -0.5, v[24:25]
	v_fma_f64 v[24:25], v[8:9], -0.5, v[30:31]
	v_mad_co_u64_u32 v[30:31], null, s16, v33, 0
	v_add_f64_e32 v[4:5], v[18:19], v[4:5]
	s_delay_alu instid0(VALU_DEP_2)
	v_mov_b32_e32 v15, v31
	v_fma_f64 v[6:7], v[16:17], s[2:3], v[20:21]
	v_fma_f64 v[8:9], v[22:23], s[6:7], v[24:25]
	;; [unrolled: 1-line block ×4, first 2 shown]
	v_mad_co_u64_u32 v[16:17], null, s17, v40, v[27:28]
	s_delay_alu instid0(VALU_DEP_1) | instskip(SKIP_2) | instid1(VALU_DEP_2)
	v_mov_b32_e32 v27, v16
	v_mad_co_u64_u32 v[17:18], null, s17, v32, v[14:15]
	v_mad_co_u64_u32 v[14:15], null, s17, v33, v[15:16]
	v_mov_b32_e32 v29, v17
	s_delay_alu instid0(VALU_DEP_2) | instskip(SKIP_1) | instid1(VALU_DEP_3)
	v_mov_b32_e32 v31, v14
	v_lshlrev_b64_e32 v[14:15], 4, v[26:27]
	v_lshlrev_b64_e32 v[16:17], 4, v[28:29]
	s_delay_alu instid0(VALU_DEP_3) | instskip(NEXT) | instid1(VALU_DEP_3)
	v_lshlrev_b64_e32 v[18:19], 4, v[30:31]
	v_add_co_u32 v14, vcc_lo, v0, v14
	s_wait_alu 0xfffd
	s_delay_alu instid0(VALU_DEP_4) | instskip(NEXT) | instid1(VALU_DEP_4)
	v_add_co_ci_u32_e32 v15, vcc_lo, v1, v15, vcc_lo
	v_add_co_u32 v16, vcc_lo, v0, v16
	s_wait_alu 0xfffd
	v_add_co_ci_u32_e32 v17, vcc_lo, v1, v17, vcc_lo
	v_add_co_u32 v0, vcc_lo, v0, v18
	s_wait_alu 0xfffd
	v_add_co_ci_u32_e32 v1, vcc_lo, v1, v19, vcc_lo
	s_clause 0x2
	global_store_b128 v[14:15], v[2:5], off
	global_store_b128 v[16:17], v[6:9], off
	;; [unrolled: 1-line block ×3, first 2 shown]
.LBB0_28:
	s_nop 0
	s_sendmsg sendmsg(MSG_DEALLOC_VGPRS)
	s_endpgm
	.section	.rodata,"a",@progbits
	.p2align	6, 0x0
	.amdhsa_kernel fft_rtc_fwd_len900_factors_10_10_3_3_wgs_180_tpt_90_halfLds_dp_op_CI_CI_sbrr_dirReg
		.amdhsa_group_segment_fixed_size 0
		.amdhsa_private_segment_fixed_size 0
		.amdhsa_kernarg_size 104
		.amdhsa_user_sgpr_count 2
		.amdhsa_user_sgpr_dispatch_ptr 0
		.amdhsa_user_sgpr_queue_ptr 0
		.amdhsa_user_sgpr_kernarg_segment_ptr 1
		.amdhsa_user_sgpr_dispatch_id 0
		.amdhsa_user_sgpr_private_segment_size 0
		.amdhsa_wavefront_size32 1
		.amdhsa_uses_dynamic_stack 0
		.amdhsa_enable_private_segment 0
		.amdhsa_system_sgpr_workgroup_id_x 1
		.amdhsa_system_sgpr_workgroup_id_y 0
		.amdhsa_system_sgpr_workgroup_id_z 0
		.amdhsa_system_sgpr_workgroup_info 0
		.amdhsa_system_vgpr_workitem_id 0
		.amdhsa_next_free_vgpr 122
		.amdhsa_next_free_sgpr 43
		.amdhsa_reserve_vcc 1
		.amdhsa_float_round_mode_32 0
		.amdhsa_float_round_mode_16_64 0
		.amdhsa_float_denorm_mode_32 3
		.amdhsa_float_denorm_mode_16_64 3
		.amdhsa_fp16_overflow 0
		.amdhsa_workgroup_processor_mode 1
		.amdhsa_memory_ordered 1
		.amdhsa_forward_progress 0
		.amdhsa_round_robin_scheduling 0
		.amdhsa_exception_fp_ieee_invalid_op 0
		.amdhsa_exception_fp_denorm_src 0
		.amdhsa_exception_fp_ieee_div_zero 0
		.amdhsa_exception_fp_ieee_overflow 0
		.amdhsa_exception_fp_ieee_underflow 0
		.amdhsa_exception_fp_ieee_inexact 0
		.amdhsa_exception_int_div_zero 0
	.end_amdhsa_kernel
	.text
.Lfunc_end0:
	.size	fft_rtc_fwd_len900_factors_10_10_3_3_wgs_180_tpt_90_halfLds_dp_op_CI_CI_sbrr_dirReg, .Lfunc_end0-fft_rtc_fwd_len900_factors_10_10_3_3_wgs_180_tpt_90_halfLds_dp_op_CI_CI_sbrr_dirReg
                                        ; -- End function
	.section	.AMDGPU.csdata,"",@progbits
; Kernel info:
; codeLenInByte = 9096
; NumSgprs: 45
; NumVgprs: 122
; ScratchSize: 0
; MemoryBound: 1
; FloatMode: 240
; IeeeMode: 1
; LDSByteSize: 0 bytes/workgroup (compile time only)
; SGPRBlocks: 5
; VGPRBlocks: 15
; NumSGPRsForWavesPerEU: 45
; NumVGPRsForWavesPerEU: 122
; Occupancy: 10
; WaveLimiterHint : 1
; COMPUTE_PGM_RSRC2:SCRATCH_EN: 0
; COMPUTE_PGM_RSRC2:USER_SGPR: 2
; COMPUTE_PGM_RSRC2:TRAP_HANDLER: 0
; COMPUTE_PGM_RSRC2:TGID_X_EN: 1
; COMPUTE_PGM_RSRC2:TGID_Y_EN: 0
; COMPUTE_PGM_RSRC2:TGID_Z_EN: 0
; COMPUTE_PGM_RSRC2:TIDIG_COMP_CNT: 0
	.text
	.p2alignl 7, 3214868480
	.fill 96, 4, 3214868480
	.type	__hip_cuid_d089ed15dbe5020f,@object ; @__hip_cuid_d089ed15dbe5020f
	.section	.bss,"aw",@nobits
	.globl	__hip_cuid_d089ed15dbe5020f
__hip_cuid_d089ed15dbe5020f:
	.byte	0                               ; 0x0
	.size	__hip_cuid_d089ed15dbe5020f, 1

	.ident	"AMD clang version 19.0.0git (https://github.com/RadeonOpenCompute/llvm-project roc-6.4.0 25133 c7fe45cf4b819c5991fe208aaa96edf142730f1d)"
	.section	".note.GNU-stack","",@progbits
	.addrsig
	.addrsig_sym __hip_cuid_d089ed15dbe5020f
	.amdgpu_metadata
---
amdhsa.kernels:
  - .args:
      - .actual_access:  read_only
        .address_space:  global
        .offset:         0
        .size:           8
        .value_kind:     global_buffer
      - .offset:         8
        .size:           8
        .value_kind:     by_value
      - .actual_access:  read_only
        .address_space:  global
        .offset:         16
        .size:           8
        .value_kind:     global_buffer
      - .actual_access:  read_only
        .address_space:  global
        .offset:         24
        .size:           8
        .value_kind:     global_buffer
      - .actual_access:  read_only
        .address_space:  global
        .offset:         32
        .size:           8
        .value_kind:     global_buffer
      - .offset:         40
        .size:           8
        .value_kind:     by_value
      - .actual_access:  read_only
        .address_space:  global
        .offset:         48
        .size:           8
        .value_kind:     global_buffer
      - .actual_access:  read_only
        .address_space:  global
        .offset:         56
        .size:           8
        .value_kind:     global_buffer
      - .offset:         64
        .size:           4
        .value_kind:     by_value
      - .actual_access:  read_only
        .address_space:  global
        .offset:         72
        .size:           8
        .value_kind:     global_buffer
      - .actual_access:  read_only
        .address_space:  global
        .offset:         80
        .size:           8
        .value_kind:     global_buffer
      - .actual_access:  read_only
        .address_space:  global
        .offset:         88
        .size:           8
        .value_kind:     global_buffer
      - .actual_access:  write_only
        .address_space:  global
        .offset:         96
        .size:           8
        .value_kind:     global_buffer
    .group_segment_fixed_size: 0
    .kernarg_segment_align: 8
    .kernarg_segment_size: 104
    .language:       OpenCL C
    .language_version:
      - 2
      - 0
    .max_flat_workgroup_size: 180
    .name:           fft_rtc_fwd_len900_factors_10_10_3_3_wgs_180_tpt_90_halfLds_dp_op_CI_CI_sbrr_dirReg
    .private_segment_fixed_size: 0
    .sgpr_count:     45
    .sgpr_spill_count: 0
    .symbol:         fft_rtc_fwd_len900_factors_10_10_3_3_wgs_180_tpt_90_halfLds_dp_op_CI_CI_sbrr_dirReg.kd
    .uniform_work_group_size: 1
    .uses_dynamic_stack: false
    .vgpr_count:     122
    .vgpr_spill_count: 0
    .wavefront_size: 32
    .workgroup_processor_mode: 1
amdhsa.target:   amdgcn-amd-amdhsa--gfx1201
amdhsa.version:
  - 1
  - 2
...

	.end_amdgpu_metadata
